;; amdgpu-corpus repo=ROCm/rocFFT kind=compiled arch=gfx906 opt=O3
	.text
	.amdgcn_target "amdgcn-amd-amdhsa--gfx906"
	.amdhsa_code_object_version 6
	.protected	fft_rtc_fwd_len810_factors_3_10_3_3_3_wgs_81_tpt_81_halfLds_dp_ip_CI_sbrr_dirReg ; -- Begin function fft_rtc_fwd_len810_factors_3_10_3_3_3_wgs_81_tpt_81_halfLds_dp_ip_CI_sbrr_dirReg
	.globl	fft_rtc_fwd_len810_factors_3_10_3_3_3_wgs_81_tpt_81_halfLds_dp_ip_CI_sbrr_dirReg
	.p2align	8
	.type	fft_rtc_fwd_len810_factors_3_10_3_3_3_wgs_81_tpt_81_halfLds_dp_ip_CI_sbrr_dirReg,@function
fft_rtc_fwd_len810_factors_3_10_3_3_3_wgs_81_tpt_81_halfLds_dp_ip_CI_sbrr_dirReg: ; @fft_rtc_fwd_len810_factors_3_10_3_3_3_wgs_81_tpt_81_halfLds_dp_ip_CI_sbrr_dirReg
; %bb.0:
	s_load_dwordx2 s[2:3], s[4:5], 0x18
	s_load_dwordx4 s[8:11], s[4:5], 0x0
	s_load_dwordx2 s[14:15], s[4:5], 0x50
	v_mul_u32_u24_e32 v1, 0x32a, v0
	v_add_u32_sdwa v5, s6, v1 dst_sel:DWORD dst_unused:UNUSED_PAD src0_sel:DWORD src1_sel:WORD_1
	s_waitcnt lgkmcnt(0)
	s_load_dwordx2 s[12:13], s[2:3], 0x0
	v_cmp_lt_u64_e64 s[0:1], s[10:11], 2
	v_mov_b32_e32 v3, 0
	v_mov_b32_e32 v1, 0
	;; [unrolled: 1-line block ×3, first 2 shown]
	s_and_b64 vcc, exec, s[0:1]
	v_mov_b32_e32 v2, 0
	s_cbranch_vccnz .LBB0_8
; %bb.1:
	s_load_dwordx2 s[0:1], s[4:5], 0x10
	s_add_u32 s6, s2, 8
	s_addc_u32 s7, s3, 0
	v_mov_b32_e32 v1, 0
	v_mov_b32_e32 v2, 0
	s_waitcnt lgkmcnt(0)
	s_add_u32 s16, s0, 8
	s_addc_u32 s17, s1, 0
	s_mov_b64 s[18:19], 1
.LBB0_2:                                ; =>This Inner Loop Header: Depth=1
	s_load_dwordx2 s[20:21], s[16:17], 0x0
                                        ; implicit-def: $vgpr7_vgpr8
	s_waitcnt lgkmcnt(0)
	v_or_b32_e32 v4, s21, v6
	v_cmp_ne_u64_e32 vcc, 0, v[3:4]
	s_and_saveexec_b64 s[0:1], vcc
	s_xor_b64 s[22:23], exec, s[0:1]
	s_cbranch_execz .LBB0_4
; %bb.3:                                ;   in Loop: Header=BB0_2 Depth=1
	v_cvt_f32_u32_e32 v4, s20
	v_cvt_f32_u32_e32 v7, s21
	s_sub_u32 s0, 0, s20
	s_subb_u32 s1, 0, s21
	v_mac_f32_e32 v4, 0x4f800000, v7
	v_rcp_f32_e32 v4, v4
	v_mul_f32_e32 v4, 0x5f7ffffc, v4
	v_mul_f32_e32 v7, 0x2f800000, v4
	v_trunc_f32_e32 v7, v7
	v_mac_f32_e32 v4, 0xcf800000, v7
	v_cvt_u32_f32_e32 v7, v7
	v_cvt_u32_f32_e32 v4, v4
	v_mul_lo_u32 v8, s0, v7
	v_mul_hi_u32 v9, s0, v4
	v_mul_lo_u32 v11, s1, v4
	v_mul_lo_u32 v10, s0, v4
	v_add_u32_e32 v8, v9, v8
	v_add_u32_e32 v8, v8, v11
	v_mul_hi_u32 v9, v4, v10
	v_mul_lo_u32 v11, v4, v8
	v_mul_hi_u32 v13, v4, v8
	v_mul_hi_u32 v12, v7, v10
	v_mul_lo_u32 v10, v7, v10
	v_mul_hi_u32 v14, v7, v8
	v_add_co_u32_e32 v9, vcc, v9, v11
	v_addc_co_u32_e32 v11, vcc, 0, v13, vcc
	v_mul_lo_u32 v8, v7, v8
	v_add_co_u32_e32 v9, vcc, v9, v10
	v_addc_co_u32_e32 v9, vcc, v11, v12, vcc
	v_addc_co_u32_e32 v10, vcc, 0, v14, vcc
	v_add_co_u32_e32 v8, vcc, v9, v8
	v_addc_co_u32_e32 v9, vcc, 0, v10, vcc
	v_add_co_u32_e32 v4, vcc, v4, v8
	v_addc_co_u32_e32 v7, vcc, v7, v9, vcc
	v_mul_lo_u32 v8, s0, v7
	v_mul_hi_u32 v9, s0, v4
	v_mul_lo_u32 v10, s1, v4
	v_mul_lo_u32 v11, s0, v4
	v_add_u32_e32 v8, v9, v8
	v_add_u32_e32 v8, v8, v10
	v_mul_lo_u32 v12, v4, v8
	v_mul_hi_u32 v13, v4, v11
	v_mul_hi_u32 v14, v4, v8
	;; [unrolled: 1-line block ×3, first 2 shown]
	v_mul_lo_u32 v11, v7, v11
	v_mul_hi_u32 v9, v7, v8
	v_add_co_u32_e32 v12, vcc, v13, v12
	v_addc_co_u32_e32 v13, vcc, 0, v14, vcc
	v_mul_lo_u32 v8, v7, v8
	v_add_co_u32_e32 v11, vcc, v12, v11
	v_addc_co_u32_e32 v10, vcc, v13, v10, vcc
	v_addc_co_u32_e32 v9, vcc, 0, v9, vcc
	v_add_co_u32_e32 v8, vcc, v10, v8
	v_addc_co_u32_e32 v9, vcc, 0, v9, vcc
	v_add_co_u32_e32 v4, vcc, v4, v8
	v_addc_co_u32_e32 v9, vcc, v7, v9, vcc
	v_mad_u64_u32 v[7:8], s[0:1], v5, v9, 0
	v_mul_hi_u32 v10, v5, v4
	v_add_co_u32_e32 v11, vcc, v10, v7
	v_addc_co_u32_e32 v12, vcc, 0, v8, vcc
	v_mad_u64_u32 v[7:8], s[0:1], v6, v4, 0
	v_mad_u64_u32 v[9:10], s[0:1], v6, v9, 0
	v_add_co_u32_e32 v4, vcc, v11, v7
	v_addc_co_u32_e32 v4, vcc, v12, v8, vcc
	v_addc_co_u32_e32 v7, vcc, 0, v10, vcc
	v_add_co_u32_e32 v4, vcc, v4, v9
	v_addc_co_u32_e32 v9, vcc, 0, v7, vcc
	v_mul_lo_u32 v10, s21, v4
	v_mul_lo_u32 v11, s20, v9
	v_mad_u64_u32 v[7:8], s[0:1], s20, v4, 0
	v_add3_u32 v8, v8, v11, v10
	v_sub_u32_e32 v10, v6, v8
	v_mov_b32_e32 v11, s21
	v_sub_co_u32_e32 v7, vcc, v5, v7
	v_subb_co_u32_e64 v10, s[0:1], v10, v11, vcc
	v_subrev_co_u32_e64 v11, s[0:1], s20, v7
	v_subbrev_co_u32_e64 v10, s[0:1], 0, v10, s[0:1]
	v_cmp_le_u32_e64 s[0:1], s21, v10
	v_cndmask_b32_e64 v12, 0, -1, s[0:1]
	v_cmp_le_u32_e64 s[0:1], s20, v11
	v_cndmask_b32_e64 v11, 0, -1, s[0:1]
	v_cmp_eq_u32_e64 s[0:1], s21, v10
	v_cndmask_b32_e64 v10, v12, v11, s[0:1]
	v_add_co_u32_e64 v11, s[0:1], 2, v4
	v_addc_co_u32_e64 v12, s[0:1], 0, v9, s[0:1]
	v_add_co_u32_e64 v13, s[0:1], 1, v4
	v_addc_co_u32_e64 v14, s[0:1], 0, v9, s[0:1]
	v_subb_co_u32_e32 v8, vcc, v6, v8, vcc
	v_cmp_ne_u32_e64 s[0:1], 0, v10
	v_cmp_le_u32_e32 vcc, s21, v8
	v_cndmask_b32_e64 v10, v14, v12, s[0:1]
	v_cndmask_b32_e64 v12, 0, -1, vcc
	v_cmp_le_u32_e32 vcc, s20, v7
	v_cndmask_b32_e64 v7, 0, -1, vcc
	v_cmp_eq_u32_e32 vcc, s21, v8
	v_cndmask_b32_e32 v7, v12, v7, vcc
	v_cmp_ne_u32_e32 vcc, 0, v7
	v_cndmask_b32_e64 v7, v13, v11, s[0:1]
	v_cndmask_b32_e32 v8, v9, v10, vcc
	v_cndmask_b32_e32 v7, v4, v7, vcc
.LBB0_4:                                ;   in Loop: Header=BB0_2 Depth=1
	s_andn2_saveexec_b64 s[0:1], s[22:23]
	s_cbranch_execz .LBB0_6
; %bb.5:                                ;   in Loop: Header=BB0_2 Depth=1
	v_cvt_f32_u32_e32 v4, s20
	s_sub_i32 s22, 0, s20
	v_rcp_iflag_f32_e32 v4, v4
	v_mul_f32_e32 v4, 0x4f7ffffe, v4
	v_cvt_u32_f32_e32 v4, v4
	v_mul_lo_u32 v7, s22, v4
	v_mul_hi_u32 v7, v4, v7
	v_add_u32_e32 v4, v4, v7
	v_mul_hi_u32 v4, v5, v4
	v_mul_lo_u32 v7, v4, s20
	v_add_u32_e32 v8, 1, v4
	v_sub_u32_e32 v7, v5, v7
	v_subrev_u32_e32 v9, s20, v7
	v_cmp_le_u32_e32 vcc, s20, v7
	v_cndmask_b32_e32 v7, v7, v9, vcc
	v_cndmask_b32_e32 v4, v4, v8, vcc
	v_add_u32_e32 v8, 1, v4
	v_cmp_le_u32_e32 vcc, s20, v7
	v_cndmask_b32_e32 v7, v4, v8, vcc
	v_mov_b32_e32 v8, v3
.LBB0_6:                                ;   in Loop: Header=BB0_2 Depth=1
	s_or_b64 exec, exec, s[0:1]
	v_mul_lo_u32 v4, v8, s20
	v_mul_lo_u32 v11, v7, s21
	v_mad_u64_u32 v[9:10], s[0:1], v7, s20, 0
	s_load_dwordx2 s[0:1], s[6:7], 0x0
	s_add_u32 s18, s18, 1
	v_add3_u32 v4, v10, v11, v4
	v_sub_co_u32_e32 v5, vcc, v5, v9
	v_subb_co_u32_e32 v4, vcc, v6, v4, vcc
	s_waitcnt lgkmcnt(0)
	v_mul_lo_u32 v4, s0, v4
	v_mul_lo_u32 v6, s1, v5
	v_mad_u64_u32 v[1:2], s[0:1], s0, v5, v[1:2]
	s_addc_u32 s19, s19, 0
	s_add_u32 s6, s6, 8
	v_add3_u32 v2, v6, v2, v4
	v_mov_b32_e32 v4, s10
	v_mov_b32_e32 v5, s11
	s_addc_u32 s7, s7, 0
	v_cmp_ge_u64_e32 vcc, s[18:19], v[4:5]
	s_add_u32 s16, s16, 8
	s_addc_u32 s17, s17, 0
	s_cbranch_vccnz .LBB0_9
; %bb.7:                                ;   in Loop: Header=BB0_2 Depth=1
	v_mov_b32_e32 v5, v7
	v_mov_b32_e32 v6, v8
	s_branch .LBB0_2
.LBB0_8:
	v_mov_b32_e32 v8, v6
	v_mov_b32_e32 v7, v5
.LBB0_9:
	s_lshl_b64 s[0:1], s[10:11], 3
	s_add_u32 s0, s2, s0
	s_addc_u32 s1, s3, s1
	s_load_dwordx2 s[2:3], s[0:1], 0x0
	s_load_dwordx2 s[6:7], s[4:5], 0x20
                                        ; implicit-def: $vgpr75
                                        ; implicit-def: $vgpr76
	s_waitcnt lgkmcnt(0)
	v_mad_u64_u32 v[1:2], s[0:1], s2, v7, v[1:2]
	s_mov_b32 s0, 0x3291620
	v_mul_lo_u32 v3, s2, v8
	v_mul_lo_u32 v4, s3, v7
	v_mul_hi_u32 v5, v0, s0
	v_cmp_gt_u64_e32 vcc, s[6:7], v[7:8]
	v_cmp_le_u64_e64 s[0:1], s[6:7], v[7:8]
	v_add3_u32 v2, v4, v2, v3
	v_mul_u32_u24_e32 v3, 0x51, v5
	v_sub_u32_e32 v74, v0, v3
	s_and_saveexec_b64 s[2:3], s[0:1]
	s_xor_b64 s[0:1], exec, s[2:3]
; %bb.10:
	v_add_u32_e32 v75, 0x51, v74
	v_add_u32_e32 v76, 0xa2, v74
; %bb.11:
	s_or_saveexec_b64 s[2:3], s[0:1]
	v_lshlrev_b64 v[48:49], 4, v[1:2]
                                        ; implicit-def: $vgpr14_vgpr15
                                        ; implicit-def: $vgpr10_vgpr11
                                        ; implicit-def: $vgpr2_vgpr3
                                        ; implicit-def: $vgpr18_vgpr19
                                        ; implicit-def: $vgpr6_vgpr7
                                        ; implicit-def: $vgpr22_vgpr23
                                        ; implicit-def: $vgpr30_vgpr31
                                        ; implicit-def: $vgpr26_vgpr27
                                        ; implicit-def: $vgpr34_vgpr35
                                        ; implicit-def: $vgpr42_vgpr43
                                        ; implicit-def: $vgpr46_vgpr47
                                        ; implicit-def: $vgpr38_vgpr39
	s_xor_b64 exec, exec, s[2:3]
	s_cbranch_execz .LBB0_15
; %bb.12:
	v_mad_u64_u32 v[0:1], s[0:1], s12, v74, 0
	v_add_u32_e32 v5, 0x10e, v74
	v_mov_b32_e32 v4, s15
	v_mad_u64_u32 v[1:2], s[0:1], s13, v74, v[1:2]
	v_mad_u64_u32 v[2:3], s[0:1], s12, v5, 0
	v_add_co_u32_e64 v14, s[0:1], s14, v48
	v_addc_co_u32_e64 v15, s[0:1], v4, v49, s[0:1]
	v_mad_u64_u32 v[3:4], s[0:1], s13, v5, v[3:4]
	v_add_u32_e32 v6, 0x21c, v74
	v_mad_u64_u32 v[4:5], s[0:1], s12, v6, 0
	v_lshlrev_b64 v[0:1], 4, v[0:1]
	v_add_u32_e32 v75, 0x51, v74
	v_add_co_u32_e64 v0, s[0:1], v14, v0
	v_addc_co_u32_e64 v1, s[0:1], v15, v1, s[0:1]
	v_mad_u64_u32 v[5:6], s[0:1], s13, v6, v[5:6]
	v_mad_u64_u32 v[6:7], s[0:1], s12, v75, 0
	v_lshlrev_b64 v[2:3], 4, v[2:3]
	v_add_u32_e32 v12, 0x15f, v74
	v_add_co_u32_e64 v2, s[0:1], v14, v2
	v_addc_co_u32_e64 v3, s[0:1], v15, v3, s[0:1]
	v_mad_u64_u32 v[7:8], s[0:1], s13, v75, v[7:8]
	v_mad_u64_u32 v[8:9], s[0:1], s12, v12, 0
	v_lshlrev_b64 v[4:5], 4, v[4:5]
	v_add_u32_e32 v76, 0xa2, v74
	v_add_co_u32_e64 v10, s[0:1], v14, v4
	v_addc_co_u32_e64 v11, s[0:1], v15, v5, s[0:1]
	v_lshlrev_b64 v[4:5], 4, v[6:7]
	v_mov_b32_e32 v6, v9
	v_mad_u64_u32 v[6:7], s[0:1], s13, v12, v[6:7]
	v_add_u32_e32 v7, 0x26d, v74
	v_mad_u64_u32 v[12:13], s[0:1], s12, v7, 0
	v_add_co_u32_e64 v50, s[0:1], v14, v4
	v_mov_b32_e32 v9, v6
	v_mov_b32_e32 v6, v13
	v_addc_co_u32_e64 v51, s[0:1], v15, v5, s[0:1]
	v_mad_u64_u32 v[6:7], s[0:1], s13, v7, v[6:7]
	v_lshlrev_b64 v[4:5], 4, v[8:9]
	v_mad_u64_u32 v[7:8], s[0:1], s12, v76, 0
	v_add_co_u32_e64 v52, s[0:1], v14, v4
	v_mov_b32_e32 v13, v6
	v_mov_b32_e32 v6, v8
	v_addc_co_u32_e64 v53, s[0:1], v15, v5, s[0:1]
	v_mad_u64_u32 v[8:9], s[0:1], s13, v76, v[6:7]
	v_add_u32_e32 v9, 0x1b0, v74
	v_lshlrev_b64 v[4:5], 4, v[12:13]
	v_mad_u64_u32 v[12:13], s[0:1], s12, v9, 0
	v_add_co_u32_e64 v54, s[0:1], v14, v4
	v_mov_b32_e32 v6, v13
	v_addc_co_u32_e64 v55, s[0:1], v15, v5, s[0:1]
	v_lshlrev_b64 v[4:5], 4, v[7:8]
	v_mad_u64_u32 v[6:7], s[0:1], s13, v9, v[6:7]
	v_add_u32_e32 v9, 0x2be, v74
	v_mad_u64_u32 v[7:8], s[0:1], s12, v9, 0
	v_add_co_u32_e64 v56, s[0:1], v14, v4
	v_mov_b32_e32 v13, v6
	v_mov_b32_e32 v6, v8
	v_addc_co_u32_e64 v57, s[0:1], v15, v5, s[0:1]
	v_mad_u64_u32 v[8:9], s[0:1], s13, v9, v[6:7]
	v_lshlrev_b64 v[4:5], 4, v[12:13]
	v_add_co_u32_e64 v12, s[0:1], v14, v4
	v_addc_co_u32_e64 v13, s[0:1], v15, v5, s[0:1]
	v_lshlrev_b64 v[4:5], 4, v[7:8]
	v_add_co_u32_e64 v8, s[0:1], v14, v4
	v_addc_co_u32_e64 v9, s[0:1], v15, v5, s[0:1]
	global_load_dwordx4 v[36:39], v[0:1], off
	global_load_dwordx4 v[44:47], v[2:3], off
	;; [unrolled: 1-line block ×9, first 2 shown]
	v_cmp_gt_u32_e64 s[0:1], 27, v74
                                        ; implicit-def: $vgpr0_vgpr1
                                        ; implicit-def: $vgpr8_vgpr9
                                        ; implicit-def: $vgpr12_vgpr13
	s_and_saveexec_b64 s[4:5], s[0:1]
	s_cbranch_execz .LBB0_14
; %bb.13:
	v_add_u32_e32 v8, 0xf3, v74
	v_add_u32_e32 v10, 0x201, v74
	v_mad_u64_u32 v[0:1], s[0:1], s12, v8, 0
	v_mad_u64_u32 v[2:3], s[0:1], s12, v10, 0
	;; [unrolled: 1-line block ×3, first 2 shown]
	v_mov_b32_e32 v1, v8
	s_waitcnt vmcnt(1)
	v_mad_u64_u32 v[8:9], s[0:1], s13, v10, v[3:4]
	v_add_u32_e32 v9, 0x30f, v74
	v_mad_u64_u32 v[12:13], s[0:1], s12, v9, 0
	v_lshlrev_b64 v[0:1], 4, v[0:1]
	v_mov_b32_e32 v3, v8
	v_add_co_u32_e64 v50, s[0:1], v14, v0
	v_addc_co_u32_e64 v51, s[0:1], v15, v1, s[0:1]
	v_lshlrev_b64 v[0:1], 4, v[2:3]
	v_mov_b32_e32 v2, v13
	v_mad_u64_u32 v[52:53], s[0:1], s13, v9, v[2:3]
	v_add_co_u32_e64 v53, s[0:1], v14, v0
	v_mov_b32_e32 v13, v52
	v_lshlrev_b64 v[12:13], 4, v[12:13]
	v_addc_co_u32_e64 v54, s[0:1], v15, v1, s[0:1]
	v_add_co_u32_e64 v12, s[0:1], v14, v12
	v_addc_co_u32_e64 v13, s[0:1], v15, v13, s[0:1]
	global_load_dwordx4 v[0:3], v[50:51], off
	global_load_dwordx4 v[8:11], v[53:54], off
	s_nop 0
	global_load_dwordx4 v[12:15], v[12:13], off
.LBB0_14:
	s_or_b64 exec, exec, s[4:5]
.LBB0_15:
	s_or_b64 exec, exec, s[2:3]
	s_waitcnt vmcnt(6)
	v_add_f64 v[50:51], v[40:41], v[44:45]
	v_add_f64 v[53:54], v[44:45], v[36:37]
	v_add_f64 v[55:56], v[46:47], -v[42:43]
	s_waitcnt vmcnt(3)
	v_add_f64 v[57:58], v[28:29], v[24:25]
	s_waitcnt vmcnt(0)
	v_add_f64 v[61:62], v[16:17], v[4:5]
	v_add_f64 v[65:66], v[12:13], v[8:9]
	s_mov_b32 s2, 0xe8584caa
	s_mov_b32 s3, 0x3febb67a
	v_fma_f64 v[36:37], v[50:51], -0.5, v[36:37]
	v_add_f64 v[50:51], v[24:25], v[32:33]
	s_mov_b32 s5, 0xbfebb67a
	s_mov_b32 s4, s2
	v_add_f64 v[59:60], v[26:27], -v[30:31]
	v_add_f64 v[63:64], v[4:5], v[20:21]
	v_add_f64 v[53:54], v[40:41], v[53:54]
	v_fma_f64 v[32:33], v[57:58], -0.5, v[32:33]
	v_fma_f64 v[67:68], v[55:56], s[2:3], v[36:37]
	v_fma_f64 v[36:37], v[55:56], s[4:5], v[36:37]
	v_add_f64 v[55:56], v[6:7], -v[18:19]
	v_add_f64 v[57:58], v[10:11], -v[14:15]
	v_fma_f64 v[20:21], v[61:62], -0.5, v[20:21]
	v_add_f64 v[61:62], v[28:29], v[50:51]
	v_fma_f64 v[50:51], v[65:66], -0.5, v[0:1]
	v_mad_u32_u24 v52, v74, 24, 0
	ds_write2_b64 v52, v[53:54], v[67:68] offset1:1
	ds_write_b64 v52, v[36:37] offset:16
	v_fma_f64 v[53:54], v[59:60], s[2:3], v[32:33]
	v_fma_f64 v[59:60], v[59:60], s[4:5], v[32:33]
	v_add_f64 v[63:64], v[16:17], v[63:64]
	v_fma_f64 v[65:66], v[55:56], s[2:3], v[20:21]
	v_fma_f64 v[20:21], v[55:56], s[4:5], v[20:21]
	;; [unrolled: 1-line block ×4, first 2 shown]
	v_mad_i32_i24 v50, v75, 24, 0
	v_mad_i32_i24 v51, v76, 24, 0
	v_cmp_gt_u32_e64 s[0:1], 27, v74
	ds_write2_b64 v50, v[61:62], v[53:54] offset1:1
	ds_write_b64 v50, v[59:60] offset:16
	ds_write2_b64 v51, v[63:64], v[65:66] offset1:1
	ds_write_b64 v51, v[20:21] offset:16
	s_and_saveexec_b64 s[6:7], s[0:1]
	s_cbranch_execz .LBB0_17
; %bb.16:
	v_add_f64 v[0:1], v[8:9], v[0:1]
	v_add_u32_e32 v20, 0x16c8, v52
	v_add_f64 v[0:1], v[12:13], v[0:1]
	ds_write2_b64 v20, v[0:1], v[36:37] offset1:1
	ds_write_b64 v52, v[32:33] offset:5848
.LBB0_17:
	s_or_b64 exec, exec, s[6:7]
	v_add_f64 v[0:1], v[46:47], v[38:39]
	v_add_f64 v[20:21], v[42:43], v[46:47]
	v_add_f64 v[46:47], v[26:27], v[34:35]
	v_add_f64 v[26:27], v[30:31], v[26:27]
	v_add_f64 v[57:58], v[14:15], v[10:11]
	v_add_f64 v[53:54], v[6:7], v[22:23]
	v_add_f64 v[6:7], v[18:19], v[6:7]
	v_add_f64 v[40:41], v[44:45], -v[40:41]
	v_add_f64 v[0:1], v[42:43], v[0:1]
	v_fma_f64 v[42:43], v[20:21], -0.5, v[38:39]
	v_add_f64 v[44:45], v[30:31], v[46:47]
	v_fma_f64 v[30:31], v[26:27], -0.5, v[34:35]
	v_add_f64 v[28:29], v[24:25], -v[28:29]
	v_fma_f64 v[57:58], v[57:58], -0.5, v[2:3]
	v_add_f64 v[8:9], v[8:9], -v[12:13]
	v_add_f64 v[46:47], v[18:19], v[53:54]
	v_fma_f64 v[53:54], v[6:7], -0.5, v[22:23]
	v_add_f64 v[55:56], v[4:5], -v[16:17]
	v_fma_f64 v[59:60], v[40:41], s[4:5], v[42:43]
	v_lshlrev_b32_e32 v4, 4, v74
	v_sub_u32_e32 v77, v52, v4
	v_lshlrev_b32_e32 v61, 4, v75
	v_lshlrev_b32_e32 v62, 4, v76
	v_fma_f64 v[12:13], v[40:41], s[2:3], v[42:43]
	v_fma_f64 v[40:41], v[28:29], s[4:5], v[30:31]
	;; [unrolled: 1-line block ×5, first 2 shown]
	v_sub_u32_e32 v16, v50, v61
	v_sub_u32_e32 v17, v51, v62
	v_add_u32_e32 v68, 0x800, v77
	v_add_u32_e32 v69, 0xc00, v77
	;; [unrolled: 1-line block ×3, first 2 shown]
	s_waitcnt lgkmcnt(0)
	s_barrier
	ds_read2_b64 v[4:7], v77 offset1:243
	ds_read_b64 v[34:35], v16
	ds_read_b64 v[38:39], v17
	ds_read2_b64 v[16:19], v68 offset0:68 offset1:149
	ds_read2_b64 v[20:23], v69 offset0:102 offset1:183
	;; [unrolled: 1-line block ×3, first 2 shown]
	s_waitcnt lgkmcnt(0)
	s_barrier
	ds_write2_b64 v52, v[0:1], v[59:60] offset1:1
	v_fma_f64 v[59:60], v[55:56], s[4:5], v[53:54]
	v_fma_f64 v[53:54], v[55:56], s[2:3], v[53:54]
	v_sub_u32_e32 v1, 0, v61
	v_sub_u32_e32 v0, 0, v62
	ds_write_b64 v52, v[12:13] offset:16
	ds_write2_b64 v50, v[44:45], v[40:41] offset1:1
	ds_write_b64 v50, v[42:43] offset:16
	ds_write2_b64 v51, v[46:47], v[59:60] offset1:1
	ds_write_b64 v51, v[53:54] offset:16
	s_and_saveexec_b64 s[2:3], s[0:1]
	s_cbranch_execz .LBB0_19
; %bb.18:
	v_add_f64 v[2:3], v[10:11], v[2:3]
	v_add_u32_e32 v8, 0x16c8, v52
	v_add_f64 v[2:3], v[14:15], v[2:3]
	ds_write2_b64 v8, v[2:3], v[30:31] offset1:1
	ds_write_b64 v52, v[28:29] offset:5848
.LBB0_19:
	s_or_b64 exec, exec, s[2:3]
	s_movk_i32 s2, 0xab
	v_mul_lo_u16_sdwa v2, v74, s2 dst_sel:DWORD dst_unused:UNUSED_PAD src0_sel:BYTE_0 src1_sel:DWORD
	v_lshrrev_b16_e32 v73, 9, v2
	v_mul_lo_u16_e32 v2, 3, v73
	v_sub_u16_e32 v8, v74, v2
	v_mov_b32_e32 v2, 9
	v_mul_u32_u24_sdwa v2, v8, v2 dst_sel:DWORD dst_unused:UNUSED_PAD src0_sel:BYTE_0 src1_sel:DWORD
	v_lshlrev_b32_e32 v2, 4, v2
	s_waitcnt lgkmcnt(0)
	s_barrier
	global_load_dwordx4 v[9:12], v2, s[8:9]
	global_load_dwordx4 v[42:45], v2, s[8:9] offset:48
	global_load_dwordx4 v[52:55], v2, s[8:9] offset:64
	;; [unrolled: 1-line block ×8, first 2 shown]
	v_add_u32_e32 v78, v50, v1
	v_add_u32_e32 v79, v51, v0
	ds_read2_b64 v[92:95], v68 offset0:68 offset1:149
	ds_read2_b64 v[0:3], v77 offset1:243
	ds_read2_b64 v[96:99], v69 offset0:102 offset1:183
	ds_read2_b64 v[100:103], v70 offset0:136 offset1:217
	ds_read_b64 v[13:14], v78
	ds_read_b64 v[71:72], v79
	s_mov_b32 s2, 0x134454ff
	s_mov_b32 s3, 0x3fee6f0e
	;; [unrolled: 1-line block ×12, first 2 shown]
	s_waitcnt vmcnt(0) lgkmcnt(0)
	s_barrier
	v_mul_f64 v[40:41], v[13:14], v[11:12]
	v_mul_f64 v[11:12], v[34:35], v[11:12]
	;; [unrolled: 1-line block ×17, first 2 shown]
	v_fma_f64 v[116:117], v[34:35], v[9:10], -v[40:41]
	v_fma_f64 v[40:41], v[13:14], v[9:10], v[11:12]
	v_fma_f64 v[46:47], v[16:17], v[42:43], -v[46:47]
	v_fma_f64 v[34:35], v[92:93], v[42:43], v[44:45]
	v_fma_f64 v[9:10], v[18:19], v[52:53], -v[50:51]
	v_fma_f64 v[18:19], v[94:95], v[52:53], v[54:55]
	v_fma_f64 v[50:51], v[38:39], v[56:57], -v[104:105]
	v_fma_f64 v[42:43], v[2:3], v[60:61], v[62:63]
	v_fma_f64 v[52:53], v[20:21], v[64:65], -v[108:109]
	v_fma_f64 v[2:3], v[22:23], v[80:81], -v[110:111]
	v_fma_f64 v[20:21], v[98:99], v[80:81], v[82:83]
	v_fma_f64 v[22:23], v[24:25], v[84:85], -v[86:87]
	v_mul_f64 v[58:59], v[38:39], v[58:59]
	v_fma_f64 v[6:7], v[6:7], v[60:61], -v[106:107]
	v_fma_f64 v[11:12], v[26:27], v[88:89], -v[114:115]
	v_fma_f64 v[16:17], v[102:103], v[88:89], v[90:91]
	v_fma_f64 v[38:39], v[96:97], v[64:65], v[66:67]
	;; [unrolled: 1-line block ×3, first 2 shown]
	v_add_f64 v[26:27], v[46:47], v[52:53]
	v_add_f64 v[62:63], v[50:51], v[22:23]
	v_add_f64 v[64:65], v[46:47], -v[50:51]
	v_add_f64 v[66:67], v[52:53], -v[22:23]
	v_add_f64 v[100:101], v[18:19], v[20:21]
	v_fma_f64 v[44:45], v[71:72], v[56:57], v[58:59]
	v_add_f64 v[58:59], v[50:51], -v[46:47]
	v_add_f64 v[60:61], v[22:23], -v[52:53]
	v_add_f64 v[80:81], v[9:10], v[2:3]
	v_add_f64 v[86:87], v[6:7], v[11:12]
	;; [unrolled: 1-line block ×5, first 2 shown]
	v_add_f64 v[56:57], v[34:35], -v[38:39]
	v_add_f64 v[82:83], v[6:7], -v[9:10]
	v_add_f64 v[84:85], v[11:12], -v[2:3]
	v_add_f64 v[88:89], v[9:10], -v[6:7]
	v_add_f64 v[90:91], v[2:3], -v[11:12]
	v_add_f64 v[6:7], v[6:7], -v[11:12]
	v_fma_f64 v[26:27], v[26:27], -0.5, v[4:5]
	v_fma_f64 v[4:5], v[62:63], -0.5, v[4:5]
	v_add_f64 v[112:113], v[64:65], v[66:67]
	v_fma_f64 v[66:67], v[100:101], -0.5, v[40:41]
	v_add_f64 v[54:55], v[44:45], -v[14:15]
	v_add_f64 v[98:99], v[9:10], -v[2:3]
	;; [unrolled: 1-line block ×3, first 2 shown]
	v_add_f64 v[110:111], v[58:59], v[60:61]
	v_fma_f64 v[60:61], v[80:81], -0.5, v[116:117]
	v_fma_f64 v[62:63], v[86:87], -0.5, v[116:117]
	;; [unrolled: 1-line block ×3, first 2 shown]
	v_add_f64 v[96:97], v[42:43], -v[16:17]
	v_add_f64 v[9:10], v[71:72], v[9:10]
	v_add_f64 v[92:93], v[42:43], -v[18:19]
	v_add_f64 v[94:95], v[16:17], -v[20:21]
	v_add_f64 v[58:59], v[82:83], v[84:85]
	v_add_f64 v[64:65], v[88:89], v[90:91]
	v_fma_f64 v[84:85], v[56:57], s[4:5], v[4:5]
	v_fma_f64 v[4:5], v[56:57], s[2:3], v[4:5]
	;; [unrolled: 1-line block ×3, first 2 shown]
	v_add_f64 v[106:107], v[18:19], -v[42:43]
	v_add_f64 v[108:109], v[20:21], -v[16:17]
	v_fma_f64 v[82:83], v[54:55], s[2:3], v[26:27]
	v_fma_f64 v[26:27], v[54:55], s[4:5], v[26:27]
	;; [unrolled: 1-line block ×5, first 2 shown]
	v_add_f64 v[2:3], v[9:10], v[2:3]
	v_fma_f64 v[9:10], v[96:97], s[2:3], v[60:61]
	v_fma_f64 v[60:61], v[96:97], s[4:5], v[60:61]
	v_add_f64 v[71:72], v[92:93], v[94:95]
	v_add_f64 v[24:25], v[24:25], v[46:47]
	v_fma_f64 v[84:85], v[54:55], s[6:7], v[84:85]
	v_fma_f64 v[4:5], v[54:55], s[10:11], v[4:5]
	;; [unrolled: 1-line block ×7, first 2 shown]
	v_add_f64 v[80:81], v[106:107], v[108:109]
	v_fma_f64 v[88:89], v[6:7], s[10:11], v[90:91]
	v_fma_f64 v[62:63], v[96:97], s[10:11], v[62:63]
	v_add_f64 v[2:3], v[2:3], v[11:12]
	v_fma_f64 v[9:10], v[102:103], s[6:7], v[9:10]
	v_fma_f64 v[11:12], v[102:103], s[10:11], v[60:61]
	;; [unrolled: 1-line block ×3, first 2 shown]
	v_add_f64 v[86:87], v[24:25], v[52:53]
	v_fma_f64 v[24:25], v[71:72], s[16:17], v[66:67]
	v_fma_f64 v[90:91], v[98:99], s[6:7], v[54:55]
	;; [unrolled: 1-line block ×8, first 2 shown]
	v_mul_f64 v[9:10], v[24:25], s[6:7]
	v_fma_f64 v[60:61], v[71:72], s[16:17], v[90:91]
	v_fma_f64 v[62:63], v[80:81], s[16:17], v[6:7]
	v_mul_f64 v[6:7], v[56:57], s[2:3]
	v_mul_f64 v[11:12], v[54:55], s[16:17]
	v_add_f64 v[86:87], v[86:87], v[22:23]
	v_mul_f64 v[71:72], v[58:59], s[18:19]
	v_fma_f64 v[80:81], v[110:111], s[16:17], v[82:83]
	v_fma_f64 v[9:10], v[66:67], s[18:19], v[9:10]
	;; [unrolled: 1-line block ×5, first 2 shown]
	v_fma_f64 v[11:12], v[62:63], s[2:3], -v[11:12]
	v_fma_f64 v[26:27], v[110:111], s[16:17], v[26:27]
	v_fma_f64 v[71:72], v[60:61], s[6:7], -v[71:72]
	v_add_f64 v[84:85], v[86:87], v[2:3]
	v_add_f64 v[88:89], v[80:81], v[9:10]
	v_add_f64 v[2:3], v[86:87], -v[2:3]
	v_add_f64 v[9:10], v[80:81], -v[9:10]
	v_add_f64 v[86:87], v[82:83], v[6:7]
	v_add_f64 v[90:91], v[4:5], v[11:12]
	v_add_f64 v[6:7], v[82:83], -v[6:7]
	v_add_f64 v[81:82], v[26:27], v[71:72]
	v_add_f64 v[4:5], v[4:5], -v[11:12]
	v_add_f64 v[26:27], v[26:27], -v[71:72]
	v_mov_b32_e32 v12, 3
	v_mul_u32_u24_e32 v11, 0xf0, v73
	v_lshlrev_b32_sdwa v8, v12, v8 dst_sel:DWORD dst_unused:UNUSED_PAD src0_sel:DWORD src1_sel:BYTE_0
	v_add3_u32 v80, 0, v11, v8
	ds_write2_b64 v80, v[84:85], v[88:89] offset1:3
	ds_write2_b64 v80, v[86:87], v[90:91] offset0:6 offset1:9
	ds_write2_b64 v80, v[81:82], v[2:3] offset0:12 offset1:15
	;; [unrolled: 1-line block ×4, first 2 shown]
	s_waitcnt lgkmcnt(0)
	s_barrier
	ds_read2_b64 v[10:13], v68 offset0:14 offset1:95
	ds_read2_b64 v[2:5], v69 offset0:48 offset1:156
	;; [unrolled: 1-line block ×3, first 2 shown]
	ds_read_b64 v[72:73], v77
	ds_read_b64 v[70:71], v78
	;; [unrolled: 1-line block ×3, first 2 shown]
	s_and_saveexec_b64 s[20:21], s[0:1]
	s_cbranch_execz .LBB0_21
; %bb.20:
	ds_read_b64 v[26:27], v77 offset:1944
	ds_read_b64 v[36:37], v77 offset:4104
	;; [unrolled: 1-line block ×3, first 2 shown]
.LBB0_21:
	s_or_b64 exec, exec, s[20:21]
	v_add_f64 v[81:82], v[34:35], v[38:39]
	v_add_f64 v[83:84], v[44:45], v[14:15]
	;; [unrolled: 1-line block ×3, first 2 shown]
	v_add_f64 v[22:23], v[50:51], -v[22:23]
	v_add_f64 v[40:41], v[40:41], v[42:43]
	v_add_f64 v[46:47], v[46:47], -v[52:53]
	v_add_f64 v[50:51], v[44:45], -v[34:35]
	;; [unrolled: 1-line block ×3, first 2 shown]
	v_fma_f64 v[81:82], v[81:82], -0.5, v[0:1]
	v_fma_f64 v[0:1], v[83:84], -0.5, v[0:1]
	v_add_f64 v[44:45], v[34:35], -v[44:45]
	v_mul_f64 v[42:43], v[66:67], s[10:11]
	v_add_f64 v[34:35], v[85:86], v[34:35]
	v_add_f64 v[18:19], v[40:41], v[18:19]
	v_add_f64 v[83:84], v[38:39], -v[14:15]
	v_add_f64 v[40:41], v[50:51], v[52:53]
	v_fma_f64 v[66:67], v[22:23], s[4:5], v[81:82]
	v_fma_f64 v[81:82], v[22:23], s[2:3], v[81:82]
	;; [unrolled: 1-line block ×4, first 2 shown]
	v_add_f64 v[34:35], v[34:35], v[38:39]
	v_add_f64 v[18:19], v[18:19], v[20:21]
	v_mul_f64 v[64:65], v[64:65], s[4:5]
	v_add_f64 v[44:45], v[44:45], v[83:84]
	v_fma_f64 v[38:39], v[46:47], s[10:11], v[66:67]
	v_fma_f64 v[46:47], v[46:47], s[6:7], v[81:82]
	;; [unrolled: 1-line block ×4, first 2 shown]
	v_mul_f64 v[20:21], v[62:63], s[16:17]
	v_mul_f64 v[22:23], v[60:61], s[18:19]
	v_add_f64 v[14:15], v[34:35], v[14:15]
	v_add_f64 v[16:17], v[18:19], v[16:17]
	v_fma_f64 v[34:35], v[40:41], s[16:17], v[38:39]
	v_fma_f64 v[18:19], v[24:25], s[18:19], v[42:43]
	;; [unrolled: 1-line block ×6, first 2 shown]
	v_fma_f64 v[20:21], v[54:55], s[4:5], -v[20:21]
	v_fma_f64 v[22:23], v[58:59], s[10:11], -v[22:23]
	v_add_f64 v[42:43], v[14:15], v[16:17]
	v_add_f64 v[44:45], v[34:35], v[18:19]
	v_add_f64 v[14:15], v[14:15], -v[16:17]
	v_add_f64 v[16:17], v[34:35], -v[18:19]
	s_waitcnt lgkmcnt(0)
	v_add_f64 v[46:47], v[40:41], v[24:25]
	v_add_f64 v[50:51], v[0:1], v[20:21]
	;; [unrolled: 1-line block ×3, first 2 shown]
	v_add_f64 v[18:19], v[40:41], -v[24:25]
	v_add_f64 v[0:1], v[0:1], -v[20:21]
	;; [unrolled: 1-line block ×3, first 2 shown]
	s_barrier
	ds_write2_b64 v80, v[42:43], v[44:45] offset1:3
	ds_write2_b64 v80, v[46:47], v[50:51] offset0:6 offset1:9
	ds_write2_b64 v80, v[52:53], v[14:15] offset0:12 offset1:15
	;; [unrolled: 1-line block ×4, first 2 shown]
	v_add_u32_e32 v0, 0x800, v77
	s_waitcnt lgkmcnt(0)
	s_barrier
	ds_read2_b64 v[22:25], v0 offset0:14 offset1:95
	v_add_u32_e32 v0, 0xc00, v77
	ds_read2_b64 v[14:17], v0 offset0:48 offset1:156
	v_add_u32_e32 v0, 0x1000, v77
	ds_read2_b64 v[18:21], v0 offset0:109 offset1:190
	ds_read_b64 v[46:47], v77
	ds_read_b64 v[44:45], v78
	;; [unrolled: 1-line block ×3, first 2 shown]
	s_and_saveexec_b64 s[2:3], s[0:1]
	s_cbranch_execz .LBB0_23
; %bb.22:
	ds_read_b64 v[34:35], v77 offset:1944
	ds_read_b64 v[30:31], v77 offset:4104
	ds_read_b64 v[28:29], v77 offset:6264
.LBB0_23:
	s_or_b64 exec, exec, s[2:3]
	s_movk_i32 s2, 0x89
	v_mul_lo_u16_sdwa v0, v74, s2 dst_sel:DWORD dst_unused:UNUSED_PAD src0_sel:BYTE_0 src1_sel:DWORD
	v_lshrrev_b16_e32 v0, 12, v0
	v_mul_lo_u16_e32 v1, 30, v0
	v_sub_u16_e32 v1, v74, v1
	v_mov_b32_e32 v54, 5
	v_lshlrev_b32_sdwa v55, v54, v1 dst_sel:DWORD dst_unused:UNUSED_PAD src0_sel:DWORD src1_sel:BYTE_0
	global_load_dwordx4 v[38:41], v55, s[8:9] offset:448
	global_load_dwordx4 v[50:53], v55, s[8:9] offset:432
	v_mul_lo_u16_sdwa v55, v75, s2 dst_sel:DWORD dst_unused:UNUSED_PAD src0_sel:BYTE_0 src1_sel:DWORD
	v_lshrrev_b16_e32 v55, 12, v55
	v_mul_lo_u16_e32 v56, 30, v55
	v_sub_u16_e32 v60, v75, v56
	v_lshlrev_b32_sdwa v61, v54, v60 dst_sel:DWORD dst_unused:UNUSED_PAD src0_sel:DWORD src1_sel:BYTE_0
	global_load_dwordx4 v[82:85], v61, s[8:9] offset:448
	global_load_dwordx4 v[56:59], v61, s[8:9] offset:432
	v_mul_lo_u16_sdwa v61, v76, s2 dst_sel:DWORD dst_unused:UNUSED_PAD src0_sel:BYTE_0 src1_sel:DWORD
	v_lshrrev_b16_e32 v61, 12, v61
	v_mul_lo_u16_e32 v62, 30, v61
	v_sub_u16_e32 v62, v76, v62
	v_add_u32_e32 v80, 0xf3, v74
	v_lshlrev_b32_sdwa v54, v54, v62 dst_sel:DWORD dst_unused:UNUSED_PAD src0_sel:DWORD src1_sel:BYTE_0
	s_mov_b32 s2, 0x8889
	global_load_dwordx4 v[86:89], v54, s[8:9] offset:448
	global_load_dwordx4 v[90:93], v54, s[8:9] offset:432
	v_mul_u32_u24_sdwa v54, v80, s2 dst_sel:DWORD dst_unused:UNUSED_PAD src0_sel:WORD_0 src1_sel:DWORD
	v_lshrrev_b32_e32 v54, 20, v54
	v_mul_lo_u16_e32 v54, 30, v54
	v_sub_u16_e32 v114, v80, v54
	v_lshlrev_b32_e32 v54, 5, v114
	global_load_dwordx4 v[94:97], v54, s[8:9] offset:432
	global_load_dwordx4 v[98:101], v54, s[8:9] offset:448
	v_mov_b32_e32 v54, 3
	v_mul_u32_u24_e32 v0, 0x2d0, v0
	v_mul_u32_u24_e32 v55, 0x2d0, v55
	;; [unrolled: 1-line block ×3, first 2 shown]
	v_lshlrev_b32_sdwa v1, v54, v1 dst_sel:DWORD dst_unused:UNUSED_PAD src0_sel:DWORD src1_sel:BYTE_0
	v_lshlrev_b32_sdwa v60, v54, v60 dst_sel:DWORD dst_unused:UNUSED_PAD src0_sel:DWORD src1_sel:BYTE_0
	;; [unrolled: 1-line block ×3, first 2 shown]
	v_add3_u32 v81, 0, v0, v1
	v_add3_u32 v67, 0, v55, v60
	v_add3_u32 v66, 0, v61, v54
	s_mov_b32 s2, 0xe8584caa
	s_mov_b32 s3, 0x3febb67a
	;; [unrolled: 1-line block ×4, first 2 shown]
	s_waitcnt vmcnt(0) lgkmcnt(0)
	s_barrier
	v_mul_f64 v[54:55], v[16:17], v[40:41]
	v_mul_f64 v[0:1], v[22:23], v[52:53]
	;; [unrolled: 1-line block ×8, first 2 shown]
	v_fma_f64 v[60:61], v[10:11], v[50:51], -v[0:1]
	v_fma_f64 v[62:63], v[4:5], v[38:39], -v[54:55]
	v_fma_f64 v[64:65], v[22:23], v[50:51], v[52:53]
	v_fma_f64 v[22:23], v[16:17], v[38:39], v[40:41]
	v_mul_f64 v[108:109], v[20:21], v[88:89]
	v_mul_f64 v[106:107], v[14:15], v[92:93]
	;; [unrolled: 1-line block ×4, first 2 shown]
	v_fma_f64 v[54:55], v[12:13], v[56:57], -v[102:103]
	v_fma_f64 v[58:59], v[24:25], v[56:57], v[58:59]
	v_mul_f64 v[110:111], v[30:31], v[96:97]
	v_mul_f64 v[96:97], v[36:37], v[96:97]
	;; [unrolled: 1-line block ×4, first 2 shown]
	v_fma_f64 v[56:57], v[6:7], v[82:83], -v[104:105]
	v_fma_f64 v[12:13], v[18:19], v[82:83], v[84:85]
	v_fma_f64 v[18:19], v[2:3], v[90:91], -v[106:107]
	v_fma_f64 v[52:53], v[14:15], v[90:91], v[92:93]
	;; [unrolled: 2-line block ×4, first 2 shown]
	v_fma_f64 v[30:31], v[32:33], v[98:99], -v[112:113]
	v_add_f64 v[2:3], v[60:61], v[62:63]
	v_fma_f64 v[16:17], v[28:29], v[98:99], v[100:101]
	v_add_f64 v[8:9], v[54:55], v[56:57]
	v_add_f64 v[28:29], v[18:19], v[50:51]
	;; [unrolled: 1-line block ×3, first 2 shown]
	v_add_f64 v[4:5], v[64:65], -v[22:23]
	v_add_f64 v[24:25], v[68:69], v[18:19]
	v_add_f64 v[40:41], v[20:21], v[30:31]
	;; [unrolled: 1-line block ×3, first 2 shown]
	v_fma_f64 v[2:3], v[2:3], -0.5, v[72:73]
	v_add_f64 v[10:11], v[58:59], -v[12:13]
	v_add_f64 v[32:33], v[52:53], -v[14:15]
	;; [unrolled: 1-line block ×3, first 2 shown]
	v_fma_f64 v[8:9], v[8:9], -0.5, v[70:71]
	v_fma_f64 v[28:29], v[28:29], -0.5, v[68:69]
	;; [unrolled: 1-line block ×3, first 2 shown]
	v_add_f64 v[6:7], v[70:71], v[54:55]
	v_add_f64 v[0:1], v[0:1], v[62:63]
	;; [unrolled: 1-line block ×4, first 2 shown]
	v_fma_f64 v[38:39], v[4:5], s[2:3], v[2:3]
	v_fma_f64 v[2:3], v[4:5], s[4:5], v[2:3]
	v_fma_f64 v[4:5], v[10:11], s[2:3], v[8:9]
	v_fma_f64 v[8:9], v[10:11], s[4:5], v[8:9]
	v_fma_f64 v[10:11], v[32:33], s[2:3], v[28:29]
	v_fma_f64 v[32:33], v[32:33], s[4:5], v[28:29]
	v_fma_f64 v[28:29], v[82:83], s[2:3], v[26:27]
	v_fma_f64 v[26:27], v[82:83], s[4:5], v[26:27]
	v_add_f64 v[6:7], v[6:7], v[56:57]
	ds_write2_b64 v81, v[0:1], v[38:39] offset1:30
	ds_write_b64 v81, v[2:3] offset:480
	ds_write2_b64 v67, v[6:7], v[4:5] offset1:30
	ds_write_b64 v67, v[8:9] offset:480
	;; [unrolled: 2-line block ×3, first 2 shown]
	v_lshl_add_u32 v68, v114, 3, 0
	s_and_saveexec_b64 s[2:3], s[0:1]
	s_cbranch_execz .LBB0_25
; %bb.24:
	v_add_u32_e32 v0, 0x1000, v68
	ds_write2_b64 v0, v[24:25], v[28:29] offset0:208 offset1:238
	ds_write_b64 v68, v[26:27] offset:6240
.LBB0_25:
	s_or_b64 exec, exec, s[2:3]
	v_add_u32_e32 v0, 0x800, v77
	s_waitcnt lgkmcnt(0)
	s_barrier
	ds_read2_b64 v[8:11], v0 offset0:14 offset1:95
	v_add_u32_e32 v0, 0xc00, v77
	v_add_u32_e32 v4, 0x1000, v77
	ds_read2_b64 v[0:3], v0 offset0:48 offset1:156
	ds_read2_b64 v[4:7], v4 offset0:109 offset1:190
	ds_read_b64 v[40:41], v77
	ds_read_b64 v[38:39], v78
	;; [unrolled: 1-line block ×3, first 2 shown]
	s_and_saveexec_b64 s[2:3], s[0:1]
	s_cbranch_execz .LBB0_27
; %bb.26:
	ds_read_b64 v[24:25], v77 offset:1944
	ds_read_b64 v[28:29], v77 offset:4104
	;; [unrolled: 1-line block ×3, first 2 shown]
.LBB0_27:
	s_or_b64 exec, exec, s[2:3]
	v_add_f64 v[69:70], v[64:65], v[22:23]
	v_add_f64 v[64:65], v[46:47], v[64:65]
	v_add_f64 v[60:61], v[60:61], -v[62:63]
	v_add_f64 v[62:63], v[58:59], v[12:13]
	v_add_f64 v[54:55], v[54:55], -v[56:57]
	v_add_f64 v[56:57], v[52:53], v[14:15]
	v_add_f64 v[58:59], v[44:45], v[58:59]
	;; [unrolled: 1-line block ×3, first 2 shown]
	v_fma_f64 v[46:47], v[69:70], -0.5, v[46:47]
	v_add_f64 v[69:70], v[36:37], v[16:17]
	v_add_f64 v[18:19], v[18:19], -v[50:51]
	v_fma_f64 v[44:45], v[62:63], -0.5, v[44:45]
	v_add_f64 v[36:37], v[34:35], v[36:37]
	v_fma_f64 v[42:43], v[56:57], -0.5, v[42:43]
	v_add_f64 v[20:21], v[20:21], -v[30:31]
	s_mov_b32 s2, 0xe8584caa
	s_mov_b32 s3, 0xbfebb67a
	v_fma_f64 v[34:35], v[69:70], -0.5, v[34:35]
	s_mov_b32 s5, 0x3febb67a
	s_mov_b32 s4, s2
	v_add_f64 v[22:23], v[64:65], v[22:23]
	v_fma_f64 v[62:63], v[60:61], s[2:3], v[46:47]
	v_fma_f64 v[50:51], v[54:55], s[2:3], v[44:45]
	v_fma_f64 v[54:55], v[54:55], s[4:5], v[44:45]
	v_add_f64 v[14:15], v[52:53], v[14:15]
	v_fma_f64 v[52:53], v[18:19], s[2:3], v[42:43]
	v_fma_f64 v[18:19], v[18:19], s[4:5], v[42:43]
	v_add_f64 v[30:31], v[36:37], v[16:17]
	v_fma_f64 v[44:45], v[20:21], s[2:3], v[34:35]
	v_fma_f64 v[42:43], v[20:21], s[4:5], v[34:35]
	;; [unrolled: 1-line block ×3, first 2 shown]
	v_add_f64 v[12:13], v[58:59], v[12:13]
	s_waitcnt lgkmcnt(0)
	s_barrier
	ds_write2_b64 v81, v[22:23], v[62:63] offset1:30
	ds_write_b64 v81, v[46:47] offset:480
	ds_write2_b64 v67, v[12:13], v[50:51] offset1:30
	ds_write_b64 v67, v[54:55] offset:480
	;; [unrolled: 2-line block ×3, first 2 shown]
	s_and_saveexec_b64 s[2:3], s[0:1]
	s_cbranch_execz .LBB0_29
; %bb.28:
	v_add_u32_e32 v12, 0x1000, v68
	ds_write2_b64 v12, v[30:31], v[44:45] offset0:208 offset1:238
	ds_write_b64 v68, v[42:43] offset:6240
.LBB0_29:
	s_or_b64 exec, exec, s[2:3]
	v_add_u32_e32 v12, 0x800, v77
	s_waitcnt lgkmcnt(0)
	s_barrier
	ds_read2_b64 v[20:23], v12 offset0:14 offset1:95
	v_add_u32_e32 v12, 0xc00, v77
	v_add_u32_e32 v16, 0x1000, v77
	ds_read2_b64 v[12:15], v12 offset0:48 offset1:156
	ds_read2_b64 v[16:19], v16 offset0:109 offset1:190
	ds_read_b64 v[50:51], v77
	ds_read_b64 v[46:47], v78
	;; [unrolled: 1-line block ×3, first 2 shown]
	s_and_saveexec_b64 s[2:3], s[0:1]
	s_cbranch_execz .LBB0_31
; %bb.30:
	ds_read_b64 v[30:31], v77 offset:1944
	ds_read_b64 v[44:45], v77 offset:4104
	;; [unrolled: 1-line block ×3, first 2 shown]
.LBB0_31:
	s_or_b64 exec, exec, s[2:3]
	v_lshlrev_b32_e32 v60, 1, v74
	v_mov_b32_e32 v61, 0
	v_lshlrev_b64 v[36:37], 4, v[60:61]
	v_mov_b32_e32 v62, s9
	v_add_co_u32_e64 v36, s[2:3], s8, v36
	v_addc_co_u32_e64 v37, s[2:3], v62, v37, s[2:3]
	v_add_u32_e32 v60, -9, v74
	v_cmp_gt_u32_e64 s[2:3], 9, v74
	v_cndmask_b32_e64 v66, v60, v75, s[2:3]
	v_lshlrev_b32_e32 v60, 1, v66
	v_lshlrev_b64 v[60:61], 4, v[60:61]
	global_load_dwordx4 v[52:55], v[36:37], off offset:1408
	global_load_dwordx4 v[56:59], v[36:37], off offset:1392
	v_add_co_u32_e64 v60, s[2:3], s8, v60
	v_addc_co_u32_e64 v61, s[2:3], v62, v61, s[2:3]
	s_movk_i32 s2, 0xb7
	global_load_dwordx4 v[81:84], v[60:61], off offset:1408
	global_load_dwordx4 v[62:65], v[60:61], off offset:1392
	v_mul_lo_u16_sdwa v60, v76, s2 dst_sel:DWORD dst_unused:UNUSED_PAD src0_sel:BYTE_0 src1_sel:DWORD
	v_lshrrev_b16_e32 v60, 14, v60
	v_mul_lo_u16_e32 v61, 0x5a, v60
	v_sub_u16_e32 v61, v76, v61
	v_mov_b32_e32 v67, 5
	v_lshlrev_b32_sdwa v67, v67, v61 dst_sel:DWORD dst_unused:UNUSED_PAD src0_sel:DWORD src1_sel:BYTE_0
	s_movk_i32 s2, 0x2d83
	global_load_dwordx4 v[85:88], v67, s[8:9] offset:1408
	global_load_dwordx4 v[89:92], v67, s[8:9] offset:1392
	v_mul_u32_u24_sdwa v67, v80, s2 dst_sel:DWORD dst_unused:UNUSED_PAD src0_sel:WORD_0 src1_sel:DWORD
	v_lshrrev_b32_e32 v67, 20, v67
	v_mul_lo_u16_e32 v67, 0x5a, v67
	v_sub_u16_e32 v113, v80, v67
	v_lshlrev_b32_e32 v67, 5, v113
	global_load_dwordx4 v[93:96], v67, s[8:9] offset:1392
	global_load_dwordx4 v[97:100], v67, s[8:9] offset:1408
	v_mov_b32_e32 v68, 3
	v_mul_u32_u24_e32 v60, 0x870, v60
	v_lshlrev_b32_sdwa v61, v68, v61 dst_sel:DWORD dst_unused:UNUSED_PAD src0_sel:DWORD src1_sel:BYTE_0
	v_add3_u32 v73, 0, v60, v61
	v_mov_b32_e32 v67, 0x870
	v_cmp_lt_u32_e64 s[2:3], 8, v74
	v_cndmask_b32_e64 v67, 0, v67, s[2:3]
	v_lshlrev_b32_e32 v66, 3, v66
	v_add3_u32 v72, 0, v67, v66
	s_mov_b32 s4, 0xe8584caa
	s_mov_b32 s5, 0x3febb67a
	s_mov_b32 s7, 0xbfebb67a
	s_mov_b32 s6, s4
	s_waitcnt vmcnt(0) lgkmcnt(0)
	s_barrier
	v_mul_f64 v[68:69], v[14:15], v[54:55]
	v_mul_f64 v[60:61], v[20:21], v[58:59]
	;; [unrolled: 1-line block ×7, first 2 shown]
	v_fma_f64 v[66:67], v[8:9], v[56:57], -v[60:61]
	v_fma_f64 v[68:69], v[2:3], v[52:53], -v[68:69]
	v_mul_f64 v[83:84], v[4:5], v[83:84]
	v_fma_f64 v[70:71], v[20:21], v[56:57], v[58:59]
	v_fma_f64 v[52:53], v[14:15], v[52:53], v[54:55]
	v_mul_f64 v[107:108], v[18:19], v[87:88]
	v_mul_f64 v[105:106], v[12:13], v[91:92]
	;; [unrolled: 1-line block ×4, first 2 shown]
	v_fma_f64 v[60:61], v[10:11], v[62:63], -v[101:102]
	v_fma_f64 v[64:65], v[22:23], v[62:63], v[64:65]
	v_mul_f64 v[109:110], v[44:45], v[95:96]
	v_mul_f64 v[111:112], v[42:43], v[99:100]
	;; [unrolled: 1-line block ×4, first 2 shown]
	v_fma_f64 v[62:63], v[4:5], v[81:82], -v[103:104]
	v_fma_f64 v[20:21], v[0:1], v[89:90], -v[105:106]
	v_fma_f64 v[54:55], v[12:13], v[89:90], v[91:92]
	v_fma_f64 v[22:23], v[6:7], v[85:86], -v[107:108]
	v_fma_f64 v[12:13], v[18:19], v[85:86], v[87:88]
	v_fma_f64 v[18:19], v[28:29], v[93:94], -v[109:110]
	v_fma_f64 v[56:57], v[26:27], v[97:98], -v[111:112]
	v_add_f64 v[2:3], v[66:67], v[68:69]
	v_fma_f64 v[14:15], v[16:17], v[81:82], v[83:84]
	v_fma_f64 v[58:59], v[44:45], v[93:94], v[95:96]
	;; [unrolled: 1-line block ×3, first 2 shown]
	v_add_f64 v[8:9], v[60:61], v[62:63]
	v_add_f64 v[26:27], v[32:33], v[20:21]
	;; [unrolled: 1-line block ×5, first 2 shown]
	v_add_f64 v[4:5], v[70:71], -v[52:53]
	v_fma_f64 v[2:3], v[2:3], -0.5, v[40:41]
	v_add_f64 v[10:11], v[64:65], -v[14:15]
	v_add_f64 v[42:43], v[54:55], -v[12:13]
	v_add_f64 v[44:45], v[24:25], v[18:19]
	v_add_f64 v[83:84], v[58:59], -v[16:17]
	v_fma_f64 v[8:9], v[8:9], -0.5, v[38:39]
	v_fma_f64 v[28:29], v[28:29], -0.5, v[32:33]
	v_add_f64 v[32:33], v[26:27], v[22:23]
	v_fma_f64 v[26:27], v[81:82], -0.5, v[24:25]
	v_add_f64 v[6:7], v[38:39], v[60:61]
	v_add_f64 v[0:1], v[0:1], v[68:69]
	v_fma_f64 v[38:39], v[4:5], s[4:5], v[2:3]
	v_add_f64 v[24:25], v[44:45], v[56:57]
	v_fma_f64 v[2:3], v[4:5], s[6:7], v[2:3]
	v_fma_f64 v[4:5], v[10:11], s[4:5], v[8:9]
	v_fma_f64 v[8:9], v[10:11], s[6:7], v[8:9]
	v_fma_f64 v[10:11], v[42:43], s[4:5], v[28:29]
	v_fma_f64 v[40:41], v[42:43], s[6:7], v[28:29]
	v_fma_f64 v[28:29], v[83:84], s[4:5], v[26:27]
	v_fma_f64 v[26:27], v[83:84], s[6:7], v[26:27]
	v_add_f64 v[6:7], v[6:7], v[62:63]
	ds_write2_b64 v77, v[0:1], v[38:39] offset1:90
	ds_write_b64 v77, v[2:3] offset:1440
	ds_write2_b64 v72, v[6:7], v[4:5] offset1:90
	ds_write_b64 v72, v[8:9] offset:1440
	;; [unrolled: 2-line block ×3, first 2 shown]
	v_lshl_add_u32 v38, v113, 3, 0
	s_and_saveexec_b64 s[2:3], s[0:1]
	s_cbranch_execz .LBB0_33
; %bb.32:
	v_add_u32_e32 v0, 0x1000, v38
	ds_write2_b64 v0, v[24:25], v[28:29] offset0:28 offset1:118
	ds_write_b64 v38, v[26:27] offset:5760
.LBB0_33:
	s_or_b64 exec, exec, s[2:3]
	v_add_u32_e32 v0, 0x800, v77
	s_waitcnt lgkmcnt(0)
	s_barrier
	ds_read2_b64 v[4:7], v0 offset0:14 offset1:95
	v_add_u32_e32 v0, 0xc00, v77
	v_add_u32_e32 v8, 0x1000, v77
	ds_read2_b64 v[0:3], v0 offset0:48 offset1:156
	ds_read2_b64 v[8:11], v8 offset0:109 offset1:190
	ds_read_b64 v[44:45], v77
	ds_read_b64 v[42:43], v78
	;; [unrolled: 1-line block ×3, first 2 shown]
	s_and_saveexec_b64 s[2:3], s[0:1]
	s_cbranch_execz .LBB0_35
; %bb.34:
	ds_read_b64 v[24:25], v77 offset:1944
	ds_read_b64 v[28:29], v77 offset:4104
	;; [unrolled: 1-line block ×3, first 2 shown]
.LBB0_35:
	s_or_b64 exec, exec, s[2:3]
	v_add_f64 v[32:33], v[70:71], v[52:53]
	v_add_f64 v[70:71], v[50:51], v[70:71]
	v_add_f64 v[66:67], v[66:67], -v[68:69]
	v_add_f64 v[68:69], v[64:65], v[14:15]
	v_add_f64 v[60:61], v[60:61], -v[62:63]
	v_add_f64 v[62:63], v[54:55], v[12:13]
	s_mov_b32 s2, 0xe8584caa
	s_mov_b32 s3, 0xbfebb67a
	v_fma_f64 v[32:33], v[32:33], -0.5, v[50:51]
	v_add_f64 v[50:51], v[46:47], v[64:65]
	v_add_f64 v[64:65], v[58:59], v[16:17]
	s_mov_b32 s5, 0x3febb67a
	s_mov_b32 s4, s2
	v_fma_f64 v[46:47], v[68:69], -0.5, v[46:47]
	v_add_f64 v[20:21], v[20:21], -v[22:23]
	v_add_f64 v[22:23], v[30:31], v[58:59]
	v_fma_f64 v[68:69], v[66:67], s[2:3], v[32:33]
	v_fma_f64 v[66:67], v[66:67], s[4:5], v[32:33]
	v_add_f64 v[32:33], v[34:35], v[54:55]
	v_fma_f64 v[34:35], v[62:63], -0.5, v[34:35]
	v_fma_f64 v[54:55], v[64:65], -0.5, v[30:31]
	v_add_f64 v[18:19], v[18:19], -v[56:57]
	v_add_f64 v[52:53], v[70:71], v[52:53]
	v_add_f64 v[30:31], v[22:23], v[16:17]
	;; [unrolled: 1-line block ×3, first 2 shown]
	v_fma_f64 v[50:51], v[60:61], s[2:3], v[46:47]
	v_add_f64 v[12:13], v[32:33], v[12:13]
	v_fma_f64 v[56:57], v[20:21], s[2:3], v[34:35]
	v_fma_f64 v[20:21], v[20:21], s[4:5], v[34:35]
	;; [unrolled: 1-line block ×5, first 2 shown]
	s_waitcnt lgkmcnt(0)
	s_barrier
	ds_write2_b64 v77, v[52:53], v[68:69] offset1:90
	ds_write_b64 v77, v[66:67] offset:1440
	ds_write2_b64 v72, v[14:15], v[50:51] offset1:90
	ds_write_b64 v72, v[46:47] offset:1440
	ds_write2_b64 v73, v[12:13], v[56:57] offset1:90
	ds_write_b64 v73, v[20:21] offset:1440
	s_and_saveexec_b64 s[2:3], s[0:1]
	s_cbranch_execz .LBB0_37
; %bb.36:
	v_add_u32_e32 v12, 0x1000, v38
	ds_write2_b64 v12, v[30:31], v[34:35] offset0:28 offset1:118
	ds_write_b64 v38, v[32:33] offset:5760
.LBB0_37:
	s_or_b64 exec, exec, s[2:3]
	v_add_u32_e32 v12, 0x800, v77
	s_waitcnt lgkmcnt(0)
	s_barrier
	ds_read2_b64 v[16:19], v12 offset0:14 offset1:95
	v_add_u32_e32 v12, 0xc00, v77
	v_add_u32_e32 v20, 0x1000, v77
	ds_read2_b64 v[12:15], v12 offset0:48 offset1:156
	ds_read2_b64 v[20:23], v20 offset0:109 offset1:190
	ds_read_b64 v[52:53], v77
	ds_read_b64 v[50:51], v78
	;; [unrolled: 1-line block ×3, first 2 shown]
	s_and_saveexec_b64 s[2:3], s[0:1]
	s_cbranch_execz .LBB0_39
; %bb.38:
	ds_read_b64 v[30:31], v77 offset:1944
	ds_read_b64 v[34:35], v77 offset:4104
	;; [unrolled: 1-line block ×3, first 2 shown]
.LBB0_39:
	s_or_b64 exec, exec, s[2:3]
	s_and_saveexec_b64 s[2:3], vcc
	s_cbranch_execz .LBB0_42
; %bb.40:
	v_lshlrev_b32_e32 v38, 1, v76
	v_mov_b32_e32 v39, 0
	v_lshlrev_b64 v[54:55], 4, v[38:39]
	v_mov_b32_e32 v56, s9
	v_add_co_u32_e32 v38, vcc, s8, v54
	v_addc_co_u32_e32 v72, vcc, v56, v55, vcc
	v_add_co_u32_e32 v81, vcc, 0x10b0, v38
	v_addc_co_u32_e32 v82, vcc, 0, v72, vcc
	v_add_co_u32_e32 v83, vcc, 0x1000, v38
	v_lshlrev_b32_e32 v38, 1, v75
	v_lshlrev_b64 v[54:55], 4, v[38:39]
	s_movk_i32 s4, 0x10b0
	v_add_co_u32_e64 v38, s[2:3], s8, v54
	v_addc_co_u32_e64 v64, s[2:3], v56, v55, s[2:3]
	v_add_co_u32_e64 v70, s[2:3], s4, v38
	v_addc_co_u32_e64 v71, s[2:3], 0, v64, s[2:3]
	v_add_co_u32_e64 v62, s[2:3], s4, v36
	s_movk_i32 s6, 0x1000
	v_addc_co_u32_e64 v63, s[2:3], 0, v37, s[2:3]
	v_add_co_u32_e64 v36, s[2:3], s6, v36
	v_addc_co_u32_e64 v37, s[2:3], 0, v37, s[2:3]
	global_load_dwordx4 v[54:57], v[36:37], off offset:176
	global_load_dwordx4 v[58:61], v[62:63], off offset:16
	v_add_co_u32_e64 v36, s[2:3], s6, v38
	v_addc_co_u32_e64 v37, s[2:3], 0, v64, s[2:3]
	global_load_dwordx4 v[62:65], v[36:37], off offset:176
	global_load_dwordx4 v[66:69], v[70:71], off offset:16
	v_addc_co_u32_e32 v84, vcc, 0, v72, vcc
	global_load_dwordx4 v[70:73], v[83:84], off offset:176
	global_load_dwordx4 v[75:78], v[81:82], off offset:16
	v_mad_u64_u32 v[36:37], s[2:3], s12, v74, 0
	s_mov_b32 s2, 0xe8584caa
	s_mov_b32 s3, 0x3febb67a
	v_mad_u64_u32 v[37:38], s[10:11], s13, v74, v[37:38]
	s_mov_b32 s5, 0xbfebb67a
	s_mov_b32 s4, s2
	v_add_u32_e32 v38, 0x10e, v74
	s_movk_i32 s7, 0x21c
	s_waitcnt vmcnt(5) lgkmcnt(5)
	v_mul_f64 v[81:82], v[16:17], v[56:57]
	s_waitcnt vmcnt(4) lgkmcnt(4)
	v_mul_f64 v[83:84], v[14:15], v[60:61]
	v_mul_f64 v[56:57], v[4:5], v[56:57]
	;; [unrolled: 1-line block ×3, first 2 shown]
	s_waitcnt vmcnt(3)
	v_mul_f64 v[85:86], v[18:19], v[64:65]
	s_waitcnt vmcnt(2) lgkmcnt(3)
	v_mul_f64 v[87:88], v[20:21], v[68:69]
	v_mul_f64 v[64:65], v[6:7], v[64:65]
	;; [unrolled: 1-line block ×3, first 2 shown]
	s_waitcnt vmcnt(1)
	v_mul_f64 v[89:90], v[12:13], v[72:73]
	v_mul_f64 v[72:73], v[0:1], v[72:73]
	v_fma_f64 v[16:17], v[16:17], v[54:55], v[56:57]
	v_fma_f64 v[14:15], v[14:15], v[58:59], v[60:61]
	s_waitcnt vmcnt(0)
	v_mul_f64 v[91:92], v[22:23], v[77:78]
	v_fma_f64 v[4:5], v[4:5], v[54:55], -v[81:82]
	v_fma_f64 v[2:3], v[2:3], v[58:59], -v[83:84]
	v_fma_f64 v[6:7], v[6:7], v[62:63], -v[85:86]
	v_fma_f64 v[54:55], v[8:9], v[66:67], -v[87:88]
	v_fma_f64 v[8:9], v[18:19], v[62:63], v[64:65]
	v_mul_f64 v[77:78], v[10:11], v[77:78]
	v_fma_f64 v[18:19], v[20:21], v[66:67], v[68:69]
	v_fma_f64 v[12:13], v[12:13], v[70:71], v[72:73]
	v_add_f64 v[56:57], v[16:17], v[14:15]
	v_fma_f64 v[0:1], v[0:1], v[70:71], -v[89:90]
	v_fma_f64 v[10:11], v[10:11], v[75:76], -v[91:92]
	s_waitcnt lgkmcnt(2)
	v_add_f64 v[58:59], v[52:53], v[16:17]
	v_add_f64 v[60:61], v[4:5], v[2:3]
	s_waitcnt lgkmcnt(1)
	v_add_f64 v[68:69], v[50:51], v[8:9]
	v_add_f64 v[70:71], v[6:7], v[54:55]
	v_fma_f64 v[20:21], v[22:23], v[75:76], v[77:78]
	v_add_f64 v[22:23], v[4:5], -v[2:3]
	v_add_f64 v[62:63], v[16:17], -v[14:15]
	v_add_f64 v[16:17], v[8:9], v[18:19]
	s_waitcnt lgkmcnt(0)
	v_add_f64 v[81:82], v[46:47], v[12:13]
	v_fma_f64 v[52:53], v[56:57], -0.5, v[52:53]
	v_add_f64 v[64:65], v[44:45], v[4:5]
	v_add_f64 v[75:76], v[0:1], -v[10:11]
	v_add_f64 v[83:84], v[0:1], v[10:11]
	v_add_f64 v[0:1], v[40:41], v[0:1]
	v_add_f64 v[66:67], v[6:7], -v[54:55]
	v_add_f64 v[72:73], v[8:9], -v[18:19]
	v_add_f64 v[6:7], v[42:43], v[6:7]
	v_add_f64 v[4:5], v[58:59], v[14:15]
	v_fma_f64 v[58:59], v[60:61], -0.5, v[44:45]
	v_add_f64 v[8:9], v[68:69], v[18:19]
	v_fma_f64 v[18:19], v[70:71], -0.5, v[42:43]
	v_add_f64 v[77:78], v[12:13], v[20:21]
	v_add_f64 v[85:86], v[12:13], -v[20:21]
	v_fma_f64 v[14:15], v[16:17], -0.5, v[50:51]
	v_add_f64 v[12:13], v[81:82], v[20:21]
	v_fma_f64 v[16:17], v[22:23], s[2:3], v[52:53]
	v_fma_f64 v[20:21], v[22:23], s[4:5], v[52:53]
	v_lshlrev_b64 v[22:23], 4, v[36:37]
	v_mad_u64_u32 v[36:37], s[10:11], s12, v38, 0
	v_add_f64 v[2:3], v[64:65], v[2:3]
	v_add_f64 v[10:11], v[0:1], v[10:11]
	v_mad_u64_u32 v[37:38], s[10:11], s13, v38, v[37:38]
	v_mov_b32_e32 v1, s15
	v_add_co_u32_e32 v0, vcc, s14, v48
	v_add_u32_e32 v38, 0x21c, v74
	v_add_f64 v[6:7], v[6:7], v[54:55]
	v_fma_f64 v[54:55], v[83:84], -0.5, v[40:41]
	v_fma_f64 v[40:41], v[72:73], s[4:5], v[18:19]
	v_fma_f64 v[44:45], v[72:73], s[2:3], v[18:19]
	;; [unrolled: 1-line block ×3, first 2 shown]
	v_addc_co_u32_e32 v1, vcc, v1, v49, vcc
	v_mad_u64_u32 v[48:49], s[10:11], s12, v38, 0
	v_add_co_u32_e32 v22, vcc, v0, v22
	v_addc_co_u32_e32 v23, vcc, v1, v23, vcc
	global_store_dwordx4 v[22:23], v[2:5], off
	v_fma_f64 v[50:51], v[77:78], -0.5, v[46:47]
	v_lshlrev_b64 v[2:3], 4, v[36:37]
	v_mov_b32_e32 v4, v49
	v_mad_u64_u32 v[4:5], s[10:11], s13, v38, v[4:5]
	v_add_co_u32_e32 v2, vcc, v0, v2
	v_addc_co_u32_e32 v3, vcc, v1, v3, vcc
	global_store_dwordx4 v[2:3], v[18:21], off
	v_mov_b32_e32 v49, v4
	v_add_u32_e32 v18, 0x51, v74
	v_mad_u64_u32 v[4:5], s[10:11], s12, v18, 0
	v_fma_f64 v[42:43], v[66:67], s[2:3], v[14:15]
	v_fma_f64 v[46:47], v[66:67], s[4:5], v[14:15]
	;; [unrolled: 1-line block ×3, first 2 shown]
	v_mad_u64_u32 v[18:19], s[10:11], s13, v18, v[5:6]
	v_add_u32_e32 v21, 0x15f, v74
	v_lshlrev_b64 v[2:3], 4, v[48:49]
	v_mad_u64_u32 v[19:20], s[10:11], s12, v21, 0
	v_add_co_u32_e32 v2, vcc, v0, v2
	v_addc_co_u32_e32 v3, vcc, v1, v3, vcc
	v_mov_b32_e32 v5, v18
	global_store_dwordx4 v[2:3], v[14:17], off
	v_lshlrev_b64 v[2:3], 4, v[4:5]
	v_mov_b32_e32 v4, v20
	v_mad_u64_u32 v[4:5], s[10:11], s13, v21, v[4:5]
	v_add_co_u32_e32 v2, vcc, v0, v2
	v_addc_co_u32_e32 v3, vcc, v1, v3, vcc
	global_store_dwordx4 v[2:3], v[6:9], off
	v_mov_b32_e32 v20, v4
	v_add_u32_e32 v6, 0x26d, v74
	v_mad_u64_u32 v[4:5], s[10:11], s12, v6, 0
	v_add_u32_e32 v7, 0xa2, v74
	s_mov_b32 s10, 0xf2b9d649
	v_mul_hi_u32 v8, v7, s10
	v_mad_u64_u32 v[5:6], s[10:11], s13, v6, v[5:6]
	v_lshlrev_b64 v[2:3], 4, v[19:20]
	v_lshrrev_b32_e32 v6, 8, v8
	v_mad_u32_u24 v8, v6, s7, v7
	v_mad_u64_u32 v[6:7], s[10:11], s12, v8, 0
	v_add_co_u32_e32 v2, vcc, v0, v2
	v_addc_co_u32_e32 v3, vcc, v1, v3, vcc
	global_store_dwordx4 v[2:3], v[44:47], off
	v_lshlrev_b64 v[2:3], 4, v[4:5]
	v_mov_b32_e32 v4, v7
	v_mad_u64_u32 v[4:5], s[10:11], s13, v8, v[4:5]
	v_add_co_u32_e32 v2, vcc, v0, v2
	v_addc_co_u32_e32 v3, vcc, v1, v3, vcc
	v_mov_b32_e32 v7, v4
	global_store_dwordx4 v[2:3], v[40:43], off
	v_lshlrev_b64 v[2:3], 4, v[6:7]
	v_add_u32_e32 v6, 0x10e, v8
	v_mad_u64_u32 v[4:5], s[10:11], s12, v6, 0
	v_add_u32_e32 v8, 0x21c, v8
	v_fma_f64 v[52:53], v[75:76], s[2:3], v[50:51]
	v_mad_u64_u32 v[5:6], s[10:11], s13, v6, v[5:6]
	v_mad_u64_u32 v[6:7], s[10:11], s12, v8, 0
	v_fma_f64 v[56:57], v[75:76], s[4:5], v[50:51]
	v_fma_f64 v[50:51], v[85:86], s[4:5], v[54:55]
	;; [unrolled: 1-line block ×3, first 2 shown]
	v_add_co_u32_e32 v2, vcc, v0, v2
	v_addc_co_u32_e32 v3, vcc, v1, v3, vcc
	global_store_dwordx4 v[2:3], v[10:13], off
	v_lshlrev_b64 v[2:3], 4, v[4:5]
	v_mov_b32_e32 v4, v7
	v_mad_u64_u32 v[4:5], s[10:11], s13, v8, v[4:5]
	v_add_co_u32_e32 v2, vcc, v0, v2
	v_addc_co_u32_e32 v3, vcc, v1, v3, vcc
	v_mov_b32_e32 v7, v4
	global_store_dwordx4 v[2:3], v[54:57], off
	v_lshlrev_b64 v[2:3], 4, v[6:7]
	v_add_co_u32_e32 v2, vcc, v0, v2
	v_addc_co_u32_e32 v3, vcc, v1, v3, vcc
	global_store_dwordx4 v[2:3], v[50:53], off
	s_and_b64 exec, exec, s[0:1]
	s_cbranch_execz .LBB0_42
; %bb.41:
	v_subrev_u32_e32 v2, 27, v74
	v_cndmask_b32_e64 v2, v2, v80, s[0:1]
	v_lshlrev_b32_e32 v38, 1, v2
	v_lshlrev_b64 v[2:3], 4, v[38:39]
	v_mov_b32_e32 v4, s9
	v_add_co_u32_e32 v2, vcc, s8, v2
	v_addc_co_u32_e32 v7, vcc, v4, v3, vcc
	v_add_co_u32_e32 v6, vcc, 0x10b0, v2
	s_mov_b64 s[0:1], vcc
	v_add_co_u32_e32 v2, vcc, s6, v2
	v_addc_co_u32_e32 v3, vcc, 0, v7, vcc
	v_addc_co_u32_e64 v7, vcc, 0, v7, s[0:1]
	global_load_dwordx4 v[2:5], v[2:3], off offset:176
	v_add_u32_e32 v21, 0x201, v74
	global_load_dwordx4 v[6:9], v[6:7], off offset:16
	v_mad_u64_u32 v[10:11], s[0:1], s12, v80, 0
	v_mad_u64_u32 v[12:13], s[0:1], s12, v21, 0
	v_add_u32_e32 v23, 0x30f, v74
	v_mad_u64_u32 v[14:15], s[0:1], s12, v23, 0
	v_mad_u64_u32 v[16:17], s[0:1], s13, v80, v[11:12]
	v_mov_b32_e32 v11, v13
	v_mad_u64_u32 v[21:22], s[0:1], s13, v21, v[11:12]
	v_mov_b32_e32 v13, v15
	v_mov_b32_e32 v11, v16
	s_waitcnt vmcnt(1)
	v_mul_f64 v[17:18], v[34:35], v[4:5]
	v_mul_f64 v[4:5], v[28:29], v[4:5]
	s_waitcnt vmcnt(0)
	v_mul_f64 v[19:20], v[32:33], v[8:9]
	v_mul_f64 v[8:9], v[26:27], v[8:9]
	v_fma_f64 v[17:18], v[28:29], v[2:3], -v[17:18]
	v_fma_f64 v[2:3], v[34:35], v[2:3], v[4:5]
	v_fma_f64 v[4:5], v[26:27], v[6:7], -v[19:20]
	v_fma_f64 v[6:7], v[32:33], v[6:7], v[8:9]
	v_mad_u64_u32 v[8:9], s[0:1], s13, v23, v[13:14]
	v_mov_b32_e32 v13, v21
	v_lshlrev_b64 v[9:10], 4, v[10:11]
	v_lshlrev_b64 v[26:27], 4, v[12:13]
	v_add_f64 v[11:12], v[24:25], v[17:18]
	v_add_f64 v[19:20], v[17:18], v[4:5]
	;; [unrolled: 1-line block ×4, first 2 shown]
	v_add_f64 v[28:29], v[2:3], -v[6:7]
	v_add_f64 v[16:17], v[17:18], -v[4:5]
	v_mov_b32_e32 v15, v8
	v_lshlrev_b64 v[14:15], 4, v[14:15]
	v_add_f64 v[2:3], v[11:12], v[4:5]
	v_fma_f64 v[18:19], v[19:20], -0.5, v[24:25]
	v_fma_f64 v[20:21], v[21:22], -0.5, v[30:31]
	v_add_f64 v[4:5], v[32:33], v[6:7]
	v_add_co_u32_e32 v22, vcc, v0, v9
	v_addc_co_u32_e32 v23, vcc, v1, v10, vcc
	v_fma_f64 v[6:7], v[28:29], s[2:3], v[18:19]
	v_fma_f64 v[8:9], v[16:17], s[4:5], v[20:21]
	;; [unrolled: 1-line block ×4, first 2 shown]
	v_add_co_u32_e32 v16, vcc, v0, v26
	v_addc_co_u32_e32 v17, vcc, v1, v27, vcc
	v_add_co_u32_e32 v0, vcc, v0, v14
	v_addc_co_u32_e32 v1, vcc, v1, v15, vcc
	global_store_dwordx4 v[22:23], v[2:5], off
	global_store_dwordx4 v[16:17], v[6:9], off
	;; [unrolled: 1-line block ×3, first 2 shown]
.LBB0_42:
	s_endpgm
	.section	.rodata,"a",@progbits
	.p2align	6, 0x0
	.amdhsa_kernel fft_rtc_fwd_len810_factors_3_10_3_3_3_wgs_81_tpt_81_halfLds_dp_ip_CI_sbrr_dirReg
		.amdhsa_group_segment_fixed_size 0
		.amdhsa_private_segment_fixed_size 0
		.amdhsa_kernarg_size 88
		.amdhsa_user_sgpr_count 6
		.amdhsa_user_sgpr_private_segment_buffer 1
		.amdhsa_user_sgpr_dispatch_ptr 0
		.amdhsa_user_sgpr_queue_ptr 0
		.amdhsa_user_sgpr_kernarg_segment_ptr 1
		.amdhsa_user_sgpr_dispatch_id 0
		.amdhsa_user_sgpr_flat_scratch_init 0
		.amdhsa_user_sgpr_private_segment_size 0
		.amdhsa_uses_dynamic_stack 0
		.amdhsa_system_sgpr_private_segment_wavefront_offset 0
		.amdhsa_system_sgpr_workgroup_id_x 1
		.amdhsa_system_sgpr_workgroup_id_y 0
		.amdhsa_system_sgpr_workgroup_id_z 0
		.amdhsa_system_sgpr_workgroup_info 0
		.amdhsa_system_vgpr_workitem_id 0
		.amdhsa_next_free_vgpr 118
		.amdhsa_next_free_sgpr 24
		.amdhsa_reserve_vcc 1
		.amdhsa_reserve_flat_scratch 0
		.amdhsa_float_round_mode_32 0
		.amdhsa_float_round_mode_16_64 0
		.amdhsa_float_denorm_mode_32 3
		.amdhsa_float_denorm_mode_16_64 3
		.amdhsa_dx10_clamp 1
		.amdhsa_ieee_mode 1
		.amdhsa_fp16_overflow 0
		.amdhsa_exception_fp_ieee_invalid_op 0
		.amdhsa_exception_fp_denorm_src 0
		.amdhsa_exception_fp_ieee_div_zero 0
		.amdhsa_exception_fp_ieee_overflow 0
		.amdhsa_exception_fp_ieee_underflow 0
		.amdhsa_exception_fp_ieee_inexact 0
		.amdhsa_exception_int_div_zero 0
	.end_amdhsa_kernel
	.text
.Lfunc_end0:
	.size	fft_rtc_fwd_len810_factors_3_10_3_3_3_wgs_81_tpt_81_halfLds_dp_ip_CI_sbrr_dirReg, .Lfunc_end0-fft_rtc_fwd_len810_factors_3_10_3_3_3_wgs_81_tpt_81_halfLds_dp_ip_CI_sbrr_dirReg
                                        ; -- End function
	.section	.AMDGPU.csdata,"",@progbits
; Kernel info:
; codeLenInByte = 9468
; NumSgprs: 28
; NumVgprs: 118
; ScratchSize: 0
; MemoryBound: 1
; FloatMode: 240
; IeeeMode: 1
; LDSByteSize: 0 bytes/workgroup (compile time only)
; SGPRBlocks: 3
; VGPRBlocks: 29
; NumSGPRsForWavesPerEU: 28
; NumVGPRsForWavesPerEU: 118
; Occupancy: 2
; WaveLimiterHint : 1
; COMPUTE_PGM_RSRC2:SCRATCH_EN: 0
; COMPUTE_PGM_RSRC2:USER_SGPR: 6
; COMPUTE_PGM_RSRC2:TRAP_HANDLER: 0
; COMPUTE_PGM_RSRC2:TGID_X_EN: 1
; COMPUTE_PGM_RSRC2:TGID_Y_EN: 0
; COMPUTE_PGM_RSRC2:TGID_Z_EN: 0
; COMPUTE_PGM_RSRC2:TIDIG_COMP_CNT: 0
	.type	__hip_cuid_bfae71ce529b35fb,@object ; @__hip_cuid_bfae71ce529b35fb
	.section	.bss,"aw",@nobits
	.globl	__hip_cuid_bfae71ce529b35fb
__hip_cuid_bfae71ce529b35fb:
	.byte	0                               ; 0x0
	.size	__hip_cuid_bfae71ce529b35fb, 1

	.ident	"AMD clang version 19.0.0git (https://github.com/RadeonOpenCompute/llvm-project roc-6.4.0 25133 c7fe45cf4b819c5991fe208aaa96edf142730f1d)"
	.section	".note.GNU-stack","",@progbits
	.addrsig
	.addrsig_sym __hip_cuid_bfae71ce529b35fb
	.amdgpu_metadata
---
amdhsa.kernels:
  - .args:
      - .actual_access:  read_only
        .address_space:  global
        .offset:         0
        .size:           8
        .value_kind:     global_buffer
      - .offset:         8
        .size:           8
        .value_kind:     by_value
      - .actual_access:  read_only
        .address_space:  global
        .offset:         16
        .size:           8
        .value_kind:     global_buffer
      - .actual_access:  read_only
        .address_space:  global
        .offset:         24
        .size:           8
        .value_kind:     global_buffer
      - .offset:         32
        .size:           8
        .value_kind:     by_value
      - .actual_access:  read_only
        .address_space:  global
        .offset:         40
        .size:           8
        .value_kind:     global_buffer
      - .actual_access:  read_only
        .address_space:  global
        .offset:         48
        .size:           8
        .value_kind:     global_buffer
      - .offset:         56
        .size:           4
        .value_kind:     by_value
      - .actual_access:  read_only
        .address_space:  global
        .offset:         64
        .size:           8
        .value_kind:     global_buffer
      - .actual_access:  read_only
        .address_space:  global
        .offset:         72
        .size:           8
        .value_kind:     global_buffer
      - .address_space:  global
        .offset:         80
        .size:           8
        .value_kind:     global_buffer
    .group_segment_fixed_size: 0
    .kernarg_segment_align: 8
    .kernarg_segment_size: 88
    .language:       OpenCL C
    .language_version:
      - 2
      - 0
    .max_flat_workgroup_size: 81
    .name:           fft_rtc_fwd_len810_factors_3_10_3_3_3_wgs_81_tpt_81_halfLds_dp_ip_CI_sbrr_dirReg
    .private_segment_fixed_size: 0
    .sgpr_count:     28
    .sgpr_spill_count: 0
    .symbol:         fft_rtc_fwd_len810_factors_3_10_3_3_3_wgs_81_tpt_81_halfLds_dp_ip_CI_sbrr_dirReg.kd
    .uniform_work_group_size: 1
    .uses_dynamic_stack: false
    .vgpr_count:     118
    .vgpr_spill_count: 0
    .wavefront_size: 64
amdhsa.target:   amdgcn-amd-amdhsa--gfx906
amdhsa.version:
  - 1
  - 2
...

	.end_amdgpu_metadata
